;; amdgpu-corpus repo=triton-lang/triton kind=triton arch=gfx950 opt=O3 lang=triton
	.amdgcn_target "amdgcn-amd-amdhsa--gfx950"
	.amdhsa_code_object_version 5
	.text
	.globl	rms_norm_kernel                 ; -- Begin function rms_norm_kernel
	.p2align	8
	.type	rms_norm_kernel,@function
rms_norm_kernel:                        ; @rms_norm_kernel
.Lfunc_begin0:
	.cfi_sections .debug_frame
	.cfi_startproc
; %bb.30:
	.file	1 "/root/src/amdgpu-assembly/repos/triton-lang__triton-aot" "rms_norm.py"
	.loc	1 7 0 prologue_end              ; rms_norm.py:7:0
	s_load_dwordx2 s[2:3], s[0:1], 0x0
	s_load_dwordx8 s[4:11], s[0:1], 0x8
	s_load_dwordx4 s[12:15], s[0:1], 0x28
	s_waitcnt lgkmcnt(0)
	s_branch .LBB0_0
	.loc	1 0 0 is_stmt 0                 ; :0:0
.Ltmp0:
	.p2align	8
; %bb.31:
.LBB0_0:
.Ltmp1:
	.loc	1 9 15 is_stmt 1                ; rms_norm.py:9:15
	s_mul_i32 s0, s8, s16
	.loc	1 9 9 is_stmt 0                 ; rms_norm.py:9:9
	s_ashr_i32 s1, s0, 31
	s_lshl_b64 s[12:13], s[0:1], 1
.Ltmp2:
	.file	2 "/root/.local/lib/python3.13/site-packages/triton/language" "standard.py"
	.loc	2 293 36 is_stmt 1              ; standard.py:293:36 @[ rms_norm.py:16:25 ]
	v_readfirstlane_b32 s11, v0
.Ltmp3:
	.loc	1 9 9                           ; rms_norm.py:9:9
	s_add_u32 s2, s2, s12
	s_addc_u32 s3, s3, s13
	.loc	1 13 34                         ; rms_norm.py:13:34
	s_and_b32 s1, s11, 0xc0
	v_and_b32_e32 v1, 63, v0
	.loc	1 12 27                         ; rms_norm.py:12:27
	s_cmp_gt_i32 s9, 0
	.loc	1 13 34                         ; rms_norm.py:13:34
	v_or_b32_e32 v2, s1, v1
	v_mov_b32_e32 v3, 0
	s_mov_b32 s0, 0
	.loc	1 12 27                         ; rms_norm.py:12:27
	s_cselect_b64 s[14:15], -1, 0
	s_cmp_lt_i32 s9, 1
	v_mov_b32_e32 v4, 0
	v_add_u32_e32 v8, s1, v1
	s_cbranch_scc1 .LBB0_8
; %bb.1:                                ; %.lr.ph.preheader
	.loc	1 0 27 is_stmt 0                ; rms_norm.py:0:27
	v_mov_b32_e32 v4, v3
	v_mov_b32_e32 v5, v3
	s_branch .LBB0_3
.LBB0_2:                                ;   in Loop: Header=BB0_3 Depth=1
	s_or_b64 exec, exec, s[16:17]
	.loc	1 14 59 is_stmt 1               ; rms_norm.py:14:59
	s_waitcnt vmcnt(0)
	v_cvt_f32_f16_e32 v11, v9
	v_cvt_f32_f16_e32 v10, v7
	.loc	1 12 27                         ; rms_norm.py:12:27
	s_addk_i32 s0, 0x200
	s_cmp_lt_i32 s0, s9
	.loc	1 15 18                         ; rms_norm.py:15:18
	v_pk_fma_f32 v[4:5], v[10:11], v[10:11], v[4:5]
	.loc	1 12 27                         ; rms_norm.py:12:27
	s_cbranch_scc0 .LBB0_7
.LBB0_3:                                ; %.lr.ph
                                        ; =>This Inner Loop Header: Depth=1
	.loc	1 13 21                         ; rms_norm.py:13:21
	v_add_u32_e32 v6, s0, v8
	.loc	1 14 20                         ; rms_norm.py:14:20
	v_mov_b32_e32 v9, 0
	.loc	1 14 42 is_stmt 0               ; rms_norm.py:14:42
	v_cmp_gt_i32_e32 vcc, s9, v6
	v_mov_b32_e32 v7, v9
	.loc	1 14 20                         ; rms_norm.py:14:20
	s_and_saveexec_b64 s[16:17], vcc
	s_cbranch_execz .LBB0_5
; %bb.4:                                ;   in Loop: Header=BB0_3 Depth=1
	.loc	1 0 20                          ; rms_norm.py:0:20
	v_ashrrev_i32_e32 v7, 31, v6
	v_lshl_add_u64 v[10:11], v[6:7], 1, s[2:3]
	.loc	1 14 20                         ; rms_norm.py:14:20
	global_load_ushort v7, v[10:11], off
.LBB0_5:                                ;   in Loop: Header=BB0_3 Depth=1
	.loc	1 0 20                          ; rms_norm.py:0:20
	s_or_b64 exec, exec, s[16:17]
	.loc	1 14 42                         ; rms_norm.py:14:42
	v_add_u32_e32 v6, 0x100, v6
	v_cmp_gt_i32_e32 vcc, s9, v6
	.loc	1 14 20                         ; rms_norm.py:14:20
	s_and_saveexec_b64 s[16:17], vcc
	s_cbranch_execz .LBB0_2
; %bb.6:                                ;   in Loop: Header=BB0_3 Depth=1
	.loc	1 14 24                         ; rms_norm.py:14:24
	s_ashr_i32 s1, s0, 31
	v_lshl_add_u64 v[10:11], s[0:1], 0, v[2:3]
	v_lshl_add_u64 v[10:11], v[10:11], 1, s[2:3]
	.loc	1 14 20                         ; rms_norm.py:14:20
	global_load_ushort v9, v[10:11], off offset:512
	s_branch .LBB0_2
.LBB0_7:                                ; %._crit_edge.loopexit
.Ltmp4:
	.loc	2 263 15 is_stmt 1              ; standard.py:263:15 @[ standard.py:293:36 @[ rms_norm.py:16:25 ] ]
	v_add_f32_e32 v4, v4, v5
.LBB0_8:                                ; %._crit_edge
	.loc	2 263 15                        ; standard.py:263:15 @[ standard.py:293:36 @[ rms_norm.py:16:25 ] ]
	s_nop 1
	v_add_f32_dpp v3, v4, v4 row_shr:8 row_mask:0xf bank_mask:0xf bound_ctrl:1
.Ltmp5:
	.loc	2 293 36                        ; standard.py:293:36 @[ rms_norm.py:16:25 ]
	v_cmp_eq_u32_e32 vcc, 0, v1
.Ltmp6:
	.loc	2 263 15                        ; standard.py:263:15 @[ standard.py:293:36 @[ rms_norm.py:16:25 ] ]
	s_nop 0
	v_add_f32_dpp v3, v3, v3 row_shr:4 row_mask:0xf bank_mask:0xf bound_ctrl:1
	s_nop 1
	v_add_f32_dpp v3, v3, v3 row_shr:2 row_mask:0xf bank_mask:0xf bound_ctrl:1
	;; [unrolled: 2-line block ×3, first 2 shown]
.Ltmp7:
	.loc	2 293 36                        ; standard.py:293:36 @[ rms_norm.py:16:25 ]
	v_mov_b32_e32 v4, v3
	s_nop 1
	v_mov_b32_dpp v4, v4 row_bcast:15 row_mask:0xa bank_mask:0xf bound_ctrl:1
.Ltmp8:
	.loc	2 263 15                        ; standard.py:263:15 @[ standard.py:293:36 @[ rms_norm.py:16:25 ] ]
	v_add_f32_e32 v3, v3, v4
	s_nop 1
	v_add_f32_dpp v3, v3, v3 row_bcast:31 row_mask:0xf bank_mask:0xf bound_ctrl:1
.Ltmp9:
	.loc	2 293 36                        ; standard.py:293:36 @[ rms_norm.py:16:25 ]
	s_nop 0
	v_readlane_b32 s8, v3, 63
	s_and_saveexec_b64 s[0:1], vcc
	s_cbranch_execz .LBB0_10
; %bb.9:
	.loc	2 0 36 is_stmt 0                ; standard.py:0:36
	s_lshr_b32 s11, s11, 4
	s_and_b32 s11, s11, 12
	s_add_i32 s11, s11, 0
	.loc	2 293 36                        ; standard.py:293:36 @[ rms_norm.py:16:25 ]
	v_mov_b32_e32 v1, s11
	v_mov_b32_e32 v3, s8
	ds_write_b32 v1, v3
.LBB0_10:
	.loc	2 0 36                          ; standard.py:0:36
	s_or_b64 exec, exec, s[0:1]
	.loc	2 293 36                        ; standard.py:293:36 @[ rms_norm.py:16:25 ]
	v_cmp_gt_u32_e32 vcc, 4, v0
	v_lshl_add_u32 v1, v0, 2, 0
.Ltmp10:
	.loc	1 16 25 is_stmt 1               ; rms_norm.py:16:25
	v_mov_b32_e32 v3, 0
.Ltmp11:
	.loc	2 293 36                        ; standard.py:293:36 @[ rms_norm.py:16:25 ]
	s_waitcnt lgkmcnt(0)
	s_barrier
	s_and_saveexec_b64 s[0:1], vcc
; %bb.11:
	ds_read_b32 v3, v1
; %bb.12:
	.loc	2 0 36 is_stmt 0                ; standard.py:0:36
	s_or_b64 exec, exec, s[0:1]
	.loc	2 293 36                        ; standard.py:293:36 @[ rms_norm.py:16:25 ]
	s_waitcnt lgkmcnt(0)
	v_mov_b32_e32 v4, v3
	v_and_b32_e32 v0, 3, v0
	v_cmp_eq_u32_e64 s[0:1], 0, v0
	v_mov_b32_dpp v4, v4 quad_perm:[2,3,0,1] row_mask:0xf bank_mask:0xf
.Ltmp12:
	.loc	2 263 15 is_stmt 1              ; standard.py:263:15 @[ standard.py:293:36 @[ rms_norm.py:16:25 ] ]
	v_add_f32_e32 v3, v3, v4
.Ltmp13:
	.loc	2 293 36                        ; standard.py:293:36 @[ rms_norm.py:16:25 ]
	v_mov_b32_e32 v4, v3
	s_and_b64 s[16:17], vcc, s[0:1]
	s_nop 0
	v_mov_b32_dpp v4, v4 quad_perm:[1,0,3,2] row_mask:0xf bank_mask:0xf
	s_and_saveexec_b64 s[0:1], s[16:17]
; %bb.13:
	.loc	2 0 36 is_stmt 0                ; standard.py:0:36
	v_add_f32_e32 v0, v3, v4
	.loc	2 293 36                        ; standard.py:293:36 @[ rms_norm.py:16:25 ]
	ds_write_b32 v1, v0
.Ltmp14:
; %bb.14:
	.loc	2 0 36                          ; standard.py:0:36
	s_or_b64 exec, exec, s[0:1]
	.loc	1 17 27 is_stmt 1               ; rms_norm.py:17:27
	s_andn2_b64 vcc, exec, s[14:15]
.Ltmp15:
	.loc	2 293 36                        ; standard.py:293:36 @[ rms_norm.py:16:25 ]
	s_waitcnt lgkmcnt(0)
	s_barrier
.Ltmp16:
	.loc	1 17 27                         ; rms_norm.py:17:27
	s_cbranch_vccnz .LBB0_29
; %bb.15:                               ; %.lr.ph4.preheader
.Ltmp17:
	.loc	2 293 36                        ; standard.py:293:36 @[ rms_norm.py:16:25 ]
	v_mov_b32_e32 v3, 0
	ds_read_b32 v0, v3
.Ltmp18:
	.loc	1 16 43                         ; rms_norm.py:16:43
	v_cvt_f32_i32_e32 v1, s9
	.loc	1 10 9                          ; rms_norm.py:10:9
	s_add_u32 s4, s4, s12
	s_addc_u32 s5, s5, s13
	.loc	1 16 43                         ; rms_norm.py:16:43
	s_waitcnt lgkmcnt(0)
	v_div_scale_f32 v4, s[0:1], v1, v1, v0
	v_rcp_f32_e32 v5, v4
	v_div_scale_f32 v6, vcc, v0, v1, v0
	v_fma_f32 v7, -v4, v5, 1.0
	v_fmac_f32_e32 v5, v7, v5
	v_mul_f32_e32 v7, v6, v5
	v_fma_f32 v9, -v4, v7, v6
	v_fmac_f32_e32 v7, v9, v5
	v_fma_f32 v4, -v4, v7, v6
	v_div_fmas_f32 v4, v4, v5, v7
	v_div_fixup_f32 v0, v4, v1, v0
	.loc	1 16 47 is_stmt 0               ; rms_norm.py:16:47
	v_add_f32_e32 v0, s10, v0
	.loc	1 16 18                         ; rms_norm.py:16:18
	v_sqrt_f32_e32 v6, v0
.Ltmp19:
	.loc	2 293 36 is_stmt 1              ; standard.py:293:36 @[ rms_norm.py:16:25 ]
	s_mov_b32 s10, 0
	s_branch .LBB0_17
.Ltmp20:
.LBB0_16:                               ;   in Loop: Header=BB0_17 Depth=1
	.loc	2 0 36 is_stmt 0                ; standard.py:0:36
	s_or_b64 exec, exec, s[12:13]
	.loc	1 17 27 is_stmt 1               ; rms_norm.py:17:27
	s_addk_i32 s10, 0x200
	s_cmp_lt_i32 s10, s9
	s_cbranch_scc0 .LBB0_29
.LBB0_17:                               ; %.lr.ph4
                                        ; =>This Inner Loop Header: Depth=1
	.loc	1 18 21                         ; rms_norm.py:18:21
	v_add_u32_e32 v4, s10, v8
	.loc	1 20 20                         ; rms_norm.py:20:20
	s_waitcnt vmcnt(0)
	v_mov_b32_e32 v7, 0
	.loc	1 19 22                         ; rms_norm.py:19:22
	v_cmp_gt_i32_e32 vcc, s9, v4
	v_mov_b32_e32 v10, v7
	.loc	1 20 20                         ; rms_norm.py:20:20
	s_and_saveexec_b64 s[0:1], vcc
	s_cbranch_execz .LBB0_19
; %bb.18:                               ;   in Loop: Header=BB0_17 Depth=1
	.loc	1 0 20 is_stmt 0                ; rms_norm.py:0:20
	v_ashrrev_i32_e32 v5, 31, v4
	v_lshl_add_u64 v[0:1], v[4:5], 1, s[2:3]
	.loc	1 20 20                         ; rms_norm.py:20:20
	global_load_ushort v10, v[0:1], off
.LBB0_19:                               ;   in Loop: Header=BB0_17 Depth=1
	.loc	1 0 20                          ; rms_norm.py:0:20
	s_or_b64 exec, exec, s[0:1]
	.loc	1 19 22 is_stmt 1               ; rms_norm.py:19:22
	v_add_u32_e32 v0, 0x100, v4
	.loc	1 20 24                         ; rms_norm.py:20:24
	s_ashr_i32 s11, s10, 31
	.loc	1 19 22                         ; rms_norm.py:19:22
	v_cmp_gt_i32_e64 s[0:1], s9, v0
	v_lshl_add_u64 v[0:1], s[10:11], 0, v[2:3]
	.loc	1 20 20                         ; rms_norm.py:20:20
	s_and_saveexec_b64 s[12:13], s[0:1]
	s_cbranch_execz .LBB0_21
; %bb.20:                               ;   in Loop: Header=BB0_17 Depth=1
	.loc	1 20 24 is_stmt 0               ; rms_norm.py:20:24
	v_lshl_add_u64 v[12:13], v[0:1], 1, s[2:3]
	.loc	1 20 20                         ; rms_norm.py:20:20
	global_load_ushort v7, v[12:13], off offset:512
.LBB0_21:                               ;   in Loop: Header=BB0_17 Depth=1
	.loc	1 0 20                          ; rms_norm.py:0:20
	s_or_b64 exec, exec, s[12:13]
	.loc	1 21 20 is_stmt 1               ; rms_norm.py:21:20
	v_mov_b32_e32 v9, 0
	v_mov_b32_e32 v11, v9
	s_and_saveexec_b64 s[12:13], vcc
	s_cbranch_execnz .LBB0_25
; %bb.22:                               ;   in Loop: Header=BB0_17 Depth=1
	.loc	1 0 20 is_stmt 0                ; rms_norm.py:0:20
	s_or_b64 exec, exec, s[12:13]
	.loc	1 21 20                         ; rms_norm.py:21:20
	s_and_saveexec_b64 s[12:13], s[0:1]
	s_cbranch_execnz .LBB0_26
.LBB0_23:                               ;   in Loop: Header=BB0_17 Depth=1
	.loc	1 0 20                          ; rms_norm.py:0:20
	s_or_b64 exec, exec, s[12:13]
	.loc	1 23 27 is_stmt 1               ; rms_norm.py:23:27
	s_and_saveexec_b64 s[12:13], vcc
	s_cbranch_execnz .LBB0_27
.LBB0_24:                               ;   in Loop: Header=BB0_17 Depth=1
	.loc	1 0 27 is_stmt 0                ; rms_norm.py:0:27
	s_or_b64 exec, exec, s[12:13]
	.loc	1 23 27                         ; rms_norm.py:23:27
	s_and_saveexec_b64 s[12:13], s[0:1]
	s_cbranch_execz .LBB0_16
	s_branch .LBB0_28
.LBB0_25:                               ;   in Loop: Header=BB0_17 Depth=1
	.loc	1 0 27                          ; rms_norm.py:0:27
	v_ashrrev_i32_e32 v5, 31, v4
	v_lshl_add_u64 v[12:13], v[4:5], 2, s[6:7]
	.loc	1 21 20 is_stmt 1               ; rms_norm.py:21:20
	global_load_dword v11, v[12:13], off
	s_or_b64 exec, exec, s[12:13]
	s_and_saveexec_b64 s[12:13], s[0:1]
	s_cbranch_execz .LBB0_23
.LBB0_26:                               ;   in Loop: Header=BB0_17 Depth=1
	.loc	1 21 24 is_stmt 0               ; rms_norm.py:21:24
	v_lshl_add_u64 v[12:13], v[0:1], 2, s[6:7]
	.loc	1 21 20                         ; rms_norm.py:21:20
	global_load_dword v9, v[12:13], off offset:1024
	s_or_b64 exec, exec, s[12:13]
	.loc	1 23 27 is_stmt 1               ; rms_norm.py:23:27
	s_and_saveexec_b64 s[12:13], vcc
	s_cbranch_execz .LBB0_24
.LBB0_27:                               ;   in Loop: Header=BB0_17 Depth=1
	.loc	1 20 55                         ; rms_norm.py:20:55
	s_waitcnt vmcnt(0)
	v_cvt_f32_f16_e32 v10, v10
	v_ashrrev_i32_e32 v5, 31, v4
	v_lshl_add_u64 v[4:5], v[4:5], 1, s[4:5]
	.loc	1 22 16                         ; rms_norm.py:22:16
	v_div_scale_f32 v12, s[14:15], v6, v6, v10
	v_rcp_f32_e32 v13, v12
	v_div_scale_f32 v14, vcc, v10, v6, v10
	v_fma_f32 v15, -v12, v13, 1.0
	v_fmac_f32_e32 v13, v15, v13
	v_mul_f32_e32 v15, v14, v13
	v_fma_f32 v16, -v12, v15, v14
	v_fmac_f32_e32 v15, v16, v13
	v_fma_f32 v12, -v12, v15, v14
	v_div_fmas_f32 v12, v12, v13, v15
	v_div_fixup_f32 v10, v12, v6, v10
	v_fma_mixlo_f16 v10, v10, v11, 0
	.loc	1 23 27                         ; rms_norm.py:23:27
	global_store_short v[4:5], v10, off
	s_or_b64 exec, exec, s[12:13]
	s_and_saveexec_b64 s[12:13], s[0:1]
	s_cbranch_execz .LBB0_16
.LBB0_28:                               ;   in Loop: Header=BB0_17 Depth=1
	.loc	1 20 55                         ; rms_norm.py:20:55
	s_waitcnt vmcnt(0)
	v_cvt_f32_f16_e32 v4, v7
	.loc	1 23 21                         ; rms_norm.py:23:21
	v_lshl_add_u64 v[0:1], v[0:1], 1, s[4:5]
	.loc	1 22 16                         ; rms_norm.py:22:16
	v_div_scale_f32 v5, s[0:1], v6, v6, v4
	v_rcp_f32_e32 v7, v5
	v_div_scale_f32 v10, vcc, v4, v6, v4
	v_fma_f32 v11, -v5, v7, 1.0
	v_fmac_f32_e32 v7, v11, v7
	v_mul_f32_e32 v11, v10, v7
	v_fma_f32 v12, -v5, v11, v10
	v_fmac_f32_e32 v11, v12, v7
	v_fma_f32 v5, -v5, v11, v10
	v_div_fmas_f32 v5, v5, v7, v11
	v_div_fixup_f32 v4, v5, v6, v4
	v_fma_mixlo_f16 v4, v4, v9, 0
	.loc	1 23 27                         ; rms_norm.py:23:27
	global_store_short v[0:1], v4, off offset:512
	s_branch .LBB0_16
.LBB0_29:                               ; %._crit_edge5
	.loc	1 17 4                          ; rms_norm.py:17:4
	s_endpgm
.Ltmp21:
	.section	.rodata,"a",@progbits
	.p2align	6, 0x0
	.amdhsa_kernel rms_norm_kernel
		.amdhsa_group_segment_fixed_size 0
		.amdhsa_private_segment_fixed_size 0
		.amdhsa_kernarg_size 56
		.amdhsa_user_sgpr_count 16
		.amdhsa_user_sgpr_dispatch_ptr 0
		.amdhsa_user_sgpr_queue_ptr 0
		.amdhsa_user_sgpr_kernarg_segment_ptr 1
		.amdhsa_user_sgpr_dispatch_id 0
		.amdhsa_user_sgpr_kernarg_preload_length 14
		.amdhsa_user_sgpr_kernarg_preload_offset 0
		.amdhsa_user_sgpr_private_segment_size 0
		.amdhsa_uses_dynamic_stack 0
		.amdhsa_enable_private_segment 0
		.amdhsa_system_sgpr_workgroup_id_x 1
		.amdhsa_system_sgpr_workgroup_id_y 0
		.amdhsa_system_sgpr_workgroup_id_z 0
		.amdhsa_system_sgpr_workgroup_info 0
		.amdhsa_system_vgpr_workitem_id 0
		.amdhsa_next_free_vgpr 17
		.amdhsa_next_free_sgpr 18
		.amdhsa_accum_offset 20
		.amdhsa_reserve_vcc 1
		.amdhsa_reserve_xnack_mask 1
		.amdhsa_float_round_mode_32 0
		.amdhsa_float_round_mode_16_64 0
		.amdhsa_float_denorm_mode_32 3
		.amdhsa_float_denorm_mode_16_64 3
		.amdhsa_dx10_clamp 1
		.amdhsa_ieee_mode 1
		.amdhsa_fp16_overflow 0
		.amdhsa_tg_split 0
		.amdhsa_exception_fp_ieee_invalid_op 0
		.amdhsa_exception_fp_denorm_src 0
		.amdhsa_exception_fp_ieee_div_zero 0
		.amdhsa_exception_fp_ieee_overflow 0
		.amdhsa_exception_fp_ieee_underflow 0
		.amdhsa_exception_fp_ieee_inexact 0
		.amdhsa_exception_int_div_zero 0
	.end_amdhsa_kernel
	.text
.Lfunc_end0:
	.size	rms_norm_kernel, .Lfunc_end0-rms_norm_kernel
	.cfi_endproc
                                        ; -- End function
	.set rms_norm_kernel.num_vgpr, 17
	.set rms_norm_kernel.num_agpr, 0
	.set rms_norm_kernel.numbered_sgpr, 18
	.set rms_norm_kernel.num_named_barrier, 0
	.set rms_norm_kernel.private_seg_size, 0
	.set rms_norm_kernel.uses_vcc, 1
	.set rms_norm_kernel.uses_flat_scratch, 0
	.set rms_norm_kernel.has_dyn_sized_stack, 0
	.set rms_norm_kernel.has_recursion, 0
	.set rms_norm_kernel.has_indirect_call, 0
	.section	.AMDGPU.csdata,"",@progbits
; Kernel info:
; codeLenInByte = 1332
; TotalNumSgprs: 24
; NumVgprs: 17
; NumAgprs: 0
; TotalNumVgprs: 17
; ScratchSize: 0
; MemoryBound: 0
; FloatMode: 240
; IeeeMode: 1
; LDSByteSize: 0 bytes/workgroup (compile time only)
; SGPRBlocks: 2
; VGPRBlocks: 2
; NumSGPRsForWavesPerEU: 24
; NumVGPRsForWavesPerEU: 17
; AccumOffset: 20
; Occupancy: 8
; WaveLimiterHint : 0
; COMPUTE_PGM_RSRC2:SCRATCH_EN: 0
; COMPUTE_PGM_RSRC2:USER_SGPR: 16
; COMPUTE_PGM_RSRC2:TRAP_HANDLER: 0
; COMPUTE_PGM_RSRC2:TGID_X_EN: 1
; COMPUTE_PGM_RSRC2:TGID_Y_EN: 0
; COMPUTE_PGM_RSRC2:TGID_Z_EN: 0
; COMPUTE_PGM_RSRC2:TIDIG_COMP_CNT: 0
; COMPUTE_PGM_RSRC3_GFX90A:ACCUM_OFFSET: 4
; COMPUTE_PGM_RSRC3_GFX90A:TG_SPLIT: 0
	.text
	.p2alignl 6, 3212836864
	.fill 256, 4, 3212836864
	.section	.AMDGPU.gpr_maximums,"",@progbits
	.set amdgpu.max_num_vgpr, 0
	.set amdgpu.max_num_agpr, 0
	.set amdgpu.max_num_sgpr, 0
	.set amdgpu.max_num_named_barrier, 0
	.text
	.section	.debug_abbrev,"",@progbits
	.byte	1                               ; Abbreviation Code
	.byte	17                              ; DW_TAG_compile_unit
	.byte	1                               ; DW_CHILDREN_yes
	.byte	37                              ; DW_AT_producer
	.byte	14                              ; DW_FORM_strp
	.byte	19                              ; DW_AT_language
	.byte	5                               ; DW_FORM_data2
	.byte	3                               ; DW_AT_name
	.byte	14                              ; DW_FORM_strp
	.byte	16                              ; DW_AT_stmt_list
	.byte	23                              ; DW_FORM_sec_offset
	.byte	27                              ; DW_AT_comp_dir
	.byte	14                              ; DW_FORM_strp
	.byte	17                              ; DW_AT_low_pc
	.byte	1                               ; DW_FORM_addr
	.byte	18                              ; DW_AT_high_pc
	.byte	6                               ; DW_FORM_data4
	.byte	0                               ; EOM(1)
	.byte	0                               ; EOM(2)
	.byte	2                               ; Abbreviation Code
	.byte	46                              ; DW_TAG_subprogram
	.byte	0                               ; DW_CHILDREN_no
	.byte	3                               ; DW_AT_name
	.byte	14                              ; DW_FORM_strp
	.byte	32                              ; DW_AT_inline
	.byte	11                              ; DW_FORM_data1
	.byte	0                               ; EOM(1)
	.byte	0                               ; EOM(2)
	.byte	3                               ; Abbreviation Code
	.byte	46                              ; DW_TAG_subprogram
	.byte	1                               ; DW_CHILDREN_yes
	.byte	17                              ; DW_AT_low_pc
	.byte	1                               ; DW_FORM_addr
	.byte	18                              ; DW_AT_high_pc
	.byte	6                               ; DW_FORM_data4
	.byte	49                              ; DW_AT_abstract_origin
	.byte	19                              ; DW_FORM_ref4
	.byte	0                               ; EOM(1)
	.byte	0                               ; EOM(2)
	.byte	4                               ; Abbreviation Code
	.byte	29                              ; DW_TAG_inlined_subroutine
	.byte	1                               ; DW_CHILDREN_yes
	.byte	49                              ; DW_AT_abstract_origin
	.byte	19                              ; DW_FORM_ref4
	.byte	85                              ; DW_AT_ranges
	.byte	23                              ; DW_FORM_sec_offset
	.byte	88                              ; DW_AT_call_file
	.byte	11                              ; DW_FORM_data1
	.byte	89                              ; DW_AT_call_line
	.byte	11                              ; DW_FORM_data1
	.byte	87                              ; DW_AT_call_column
	.byte	11                              ; DW_FORM_data1
	.byte	0                               ; EOM(1)
	.byte	0                               ; EOM(2)
	.byte	5                               ; Abbreviation Code
	.byte	29                              ; DW_TAG_inlined_subroutine
	.byte	0                               ; DW_CHILDREN_no
	.byte	49                              ; DW_AT_abstract_origin
	.byte	19                              ; DW_FORM_ref4
	.byte	85                              ; DW_AT_ranges
	.byte	23                              ; DW_FORM_sec_offset
	.byte	88                              ; DW_AT_call_file
	.byte	11                              ; DW_FORM_data1
	.byte	89                              ; DW_AT_call_line
	.byte	5                               ; DW_FORM_data2
	.byte	87                              ; DW_AT_call_column
	.byte	11                              ; DW_FORM_data1
	.byte	0                               ; EOM(1)
	.byte	0                               ; EOM(2)
	;; [unrolled: 1-line block ×3, first 2 shown]
	.section	.debug_info,"",@progbits
.Lcu_begin0:
	.long	.Ldebug_info_end0-.Ldebug_info_start0 ; Length of Unit
.Ldebug_info_start0:
	.short	4                               ; DWARF version number
	.long	.debug_abbrev                   ; Offset Into Abbrev. Section
	.byte	8                               ; Address Size (in bytes)
	.byte	1                               ; Abbrev [1] 0xb:0x52 DW_TAG_compile_unit
	.long	.Linfo_string0                  ; DW_AT_producer
	.short	2                               ; DW_AT_language
	.long	.Linfo_string1                  ; DW_AT_name
	.long	.Lline_table_start0             ; DW_AT_stmt_list
	.long	.Linfo_string2                  ; DW_AT_comp_dir
	.quad	.Lfunc_begin0                   ; DW_AT_low_pc
	.long	.Lfunc_end0-.Lfunc_begin0       ; DW_AT_high_pc
	.byte	2                               ; Abbrev [2] 0x2a:0x6 DW_TAG_subprogram
	.long	.Linfo_string3                  ; DW_AT_name
	.byte	1                               ; DW_AT_inline
	.byte	3                               ; Abbrev [3] 0x30:0x2c DW_TAG_subprogram
	.quad	.Lfunc_begin0                   ; DW_AT_low_pc
	.long	.Lfunc_end0-.Lfunc_begin0       ; DW_AT_high_pc
	.long	42                              ; DW_AT_abstract_origin
	.byte	4                               ; Abbrev [4] 0x41:0x1a DW_TAG_inlined_subroutine
	.long	42                              ; DW_AT_abstract_origin
	.long	.Ldebug_ranges0                 ; DW_AT_ranges
	.byte	1                               ; DW_AT_call_file
	.byte	16                              ; DW_AT_call_line
	.byte	25                              ; DW_AT_call_column
	.byte	5                               ; Abbrev [5] 0x4d:0xd DW_TAG_inlined_subroutine
	.long	42                              ; DW_AT_abstract_origin
	.long	.Ldebug_ranges1                 ; DW_AT_ranges
	.byte	2                               ; DW_AT_call_file
	.short	293                             ; DW_AT_call_line
	.byte	36                              ; DW_AT_call_column
	.byte	0                               ; End Of Children Mark
	.byte	0                               ; End Of Children Mark
	.byte	0                               ; End Of Children Mark
.Ldebug_info_end0:
	.section	.debug_ranges,"",@progbits
.Ldebug_ranges0:
	.quad	.Ltmp2-.Lfunc_begin0
	.quad	.Ltmp3-.Lfunc_begin0
	;; [unrolled: 1-line block ×12, first 2 shown]
	.quad	0
	.quad	0
.Ldebug_ranges1:
	.quad	.Ltmp4-.Lfunc_begin0
	.quad	.Ltmp5-.Lfunc_begin0
	;; [unrolled: 1-line block ×8, first 2 shown]
	.quad	0
	.quad	0
	.section	.debug_str,"MS",@progbits,1
.Linfo_string0:
	.asciz	"triton"                        ; string offset=0
.Linfo_string1:
	.asciz	"rms_norm.py"                   ; string offset=7
.Linfo_string2:
	.asciz	"/root/src/amdgpu-assembly/repos/triton-lang__triton-aot" ; string offset=19
.Linfo_string3:
	.asciz	"rms_norm_kernel"               ; string offset=75
	.section	".note.GNU-stack","",@progbits
	.amdgpu_metadata
---
amdhsa.kernels:
  - .agpr_count:     0
    .args:
      - .address_space:  global
        .offset:         0
        .size:           8
        .value_kind:     global_buffer
      - .address_space:  global
        .offset:         8
        .size:           8
        .value_kind:     global_buffer
      - .address_space:  global
        .offset:         16
        .size:           8
        .value_kind:     global_buffer
      - .offset:         24
        .size:           4
        .value_kind:     by_value
      - .offset:         28
        .size:           4
        .value_kind:     by_value
      - .offset:         32
        .size:           4
        .value_kind:     by_value
      - .address_space:  global
        .offset:         40
        .size:           8
        .value_kind:     global_buffer
      - .address_space:  global
        .offset:         48
        .size:           8
        .value_kind:     global_buffer
    .group_segment_fixed_size: 0
    .kernarg_segment_align: 8
    .kernarg_segment_size: 56
    .max_flat_workgroup_size: 256
    .name:           rms_norm_kernel
    .private_segment_fixed_size: 0
    .sgpr_count:     24
    .sgpr_spill_count: 0
    .symbol:         rms_norm_kernel.kd
    .uniform_work_group_size: 1
    .uses_dynamic_stack: false
    .vgpr_count:     17
    .vgpr_spill_count: 0
    .wavefront_size: 64
amdhsa.target:   amdgcn-amd-amdhsa--gfx950
amdhsa.version:
  - 1
  - 2
...

	.end_amdgpu_metadata
	.section	.debug_line,"",@progbits
.Lline_table_start0:
